;; amdgpu-corpus repo=ROCm/rocFFT kind=compiled arch=gfx1201 opt=O3
	.text
	.amdgcn_target "amdgcn-amd-amdhsa--gfx1201"
	.amdhsa_code_object_version 6
	.protected	fft_rtc_back_len128_factors_8_4_2_2_wgs_128_tpt_8_dim3_sp_ip_CI_sbcc_twdbase8_2step_dirReg_intrinsicReadWrite ; -- Begin function fft_rtc_back_len128_factors_8_4_2_2_wgs_128_tpt_8_dim3_sp_ip_CI_sbcc_twdbase8_2step_dirReg_intrinsicReadWrite
	.globl	fft_rtc_back_len128_factors_8_4_2_2_wgs_128_tpt_8_dim3_sp_ip_CI_sbcc_twdbase8_2step_dirReg_intrinsicReadWrite
	.p2align	8
	.type	fft_rtc_back_len128_factors_8_4_2_2_wgs_128_tpt_8_dim3_sp_ip_CI_sbcc_twdbase8_2step_dirReg_intrinsicReadWrite,@function
fft_rtc_back_len128_factors_8_4_2_2_wgs_128_tpt_8_dim3_sp_ip_CI_sbcc_twdbase8_2step_dirReg_intrinsicReadWrite: ; @fft_rtc_back_len128_factors_8_4_2_2_wgs_128_tpt_8_dim3_sp_ip_CI_sbcc_twdbase8_2step_dirReg_intrinsicReadWrite
; %bb.0:
	s_load_b128 s[8:11], s[0:1], 0x10
	s_mov_b32 s14, ttmp9
	s_mov_b32 s15, 0
	s_mov_b64 s[18:19], 0
	s_wait_kmcnt 0x0
	s_load_b64 s[12:13], s[8:9], 0x8
	s_wait_kmcnt 0x0
	s_add_nc_u64 s[2:3], s[12:13], -1
	s_delay_alu instid0(SALU_CYCLE_1) | instskip(NEXT) | instid1(SALU_CYCLE_1)
	s_lshr_b64 s[2:3], s[2:3], 4
	s_add_nc_u64 s[16:17], s[2:3], 1
	s_delay_alu instid0(SALU_CYCLE_1) | instskip(NEXT) | instid1(VALU_DEP_1)
	v_cmp_lt_u64_e64 s2, s[14:15], s[16:17]
	s_and_b32 vcc_lo, exec_lo, s2
	s_cbranch_vccnz .LBB0_2
; %bb.1:
	v_cvt_f32_u32_e32 v1, s16
	s_sub_co_i32 s3, 0, s16
	s_mov_b32 s19, s15
	s_delay_alu instid0(VALU_DEP_1) | instskip(NEXT) | instid1(TRANS32_DEP_1)
	v_rcp_iflag_f32_e32 v1, v1
	v_mul_f32_e32 v1, 0x4f7ffffe, v1
	s_delay_alu instid0(VALU_DEP_1) | instskip(NEXT) | instid1(VALU_DEP_1)
	v_cvt_u32_f32_e32 v1, v1
	v_readfirstlane_b32 s2, v1
	s_delay_alu instid0(VALU_DEP_1) | instskip(NEXT) | instid1(SALU_CYCLE_1)
	s_mul_i32 s3, s3, s2
	s_mul_hi_u32 s3, s2, s3
	s_delay_alu instid0(SALU_CYCLE_1) | instskip(NEXT) | instid1(SALU_CYCLE_1)
	s_add_co_i32 s2, s2, s3
	s_mul_hi_u32 s2, s14, s2
	s_delay_alu instid0(SALU_CYCLE_1) | instskip(SKIP_2) | instid1(SALU_CYCLE_1)
	s_mul_i32 s3, s2, s16
	s_add_co_i32 s4, s2, 1
	s_sub_co_i32 s3, s14, s3
	s_sub_co_i32 s5, s3, s16
	s_cmp_ge_u32 s3, s16
	s_cselect_b32 s2, s4, s2
	s_cselect_b32 s3, s5, s3
	s_add_co_i32 s4, s2, 1
	s_cmp_ge_u32 s3, s16
	s_cselect_b32 s18, s4, s2
.LBB0_2:
	s_load_b64 s[22:23], s[8:9], 0x10
	s_load_b128 s[4:7], s[10:11], 0x0
	s_mov_b64 s[8:9], s[18:19]
	s_wait_kmcnt 0x0
	v_cmp_lt_u64_e64 s2, s[18:19], s[22:23]
	s_delay_alu instid0(VALU_DEP_1)
	s_and_b32 vcc_lo, exec_lo, s2
	s_cbranch_vccnz .LBB0_4
; %bb.3:
	v_cvt_f32_u32_e32 v1, s22
	s_sub_co_i32 s3, 0, s22
	s_mov_b32 s9, 0
	s_delay_alu instid0(VALU_DEP_1) | instskip(NEXT) | instid1(TRANS32_DEP_1)
	v_rcp_iflag_f32_e32 v1, v1
	v_mul_f32_e32 v1, 0x4f7ffffe, v1
	s_delay_alu instid0(VALU_DEP_1) | instskip(NEXT) | instid1(VALU_DEP_1)
	v_cvt_u32_f32_e32 v1, v1
	v_readfirstlane_b32 s2, v1
	s_delay_alu instid0(VALU_DEP_1) | instskip(NEXT) | instid1(SALU_CYCLE_1)
	s_mul_i32 s3, s3, s2
	s_mul_hi_u32 s3, s2, s3
	s_delay_alu instid0(SALU_CYCLE_1) | instskip(NEXT) | instid1(SALU_CYCLE_1)
	s_add_co_i32 s2, s2, s3
	s_mul_hi_u32 s2, s18, s2
	s_delay_alu instid0(SALU_CYCLE_1) | instskip(NEXT) | instid1(SALU_CYCLE_1)
	s_mul_i32 s2, s2, s22
	s_sub_co_i32 s2, s18, s2
	s_delay_alu instid0(SALU_CYCLE_1) | instskip(SKIP_2) | instid1(SALU_CYCLE_1)
	s_sub_co_i32 s3, s2, s22
	s_cmp_ge_u32 s2, s22
	s_cselect_b32 s2, s3, s2
	s_sub_co_i32 s3, s2, s22
	s_cmp_ge_u32 s2, s22
	s_cselect_b32 s8, s3, s2
.LBB0_4:
	s_load_b64 s[2:3], s[0:1], 0x50
	s_load_b64 s[20:21], s[10:11], 0x10
	s_mul_u64 s[24:25], s[22:23], s[16:17]
	s_delay_alu instid0(SALU_CYCLE_1) | instskip(NEXT) | instid1(VALU_DEP_1)
	v_cmp_lt_u64_e64 s22, s[14:15], s[24:25]
	s_and_b32 vcc_lo, exec_lo, s22
	s_mov_b64 s[22:23], 0
	s_cbranch_vccnz .LBB0_6
; %bb.5:
	v_cvt_f32_u32_e32 v1, s24
	s_sub_co_i32 s23, 0, s24
	s_delay_alu instid0(VALU_DEP_1) | instskip(NEXT) | instid1(TRANS32_DEP_1)
	v_rcp_iflag_f32_e32 v1, v1
	v_mul_f32_e32 v1, 0x4f7ffffe, v1
	s_delay_alu instid0(VALU_DEP_1) | instskip(NEXT) | instid1(VALU_DEP_1)
	v_cvt_u32_f32_e32 v1, v1
	v_readfirstlane_b32 s22, v1
	s_wait_alu 0xfffe
	s_delay_alu instid0(VALU_DEP_1)
	s_mul_i32 s23, s23, s22
	s_wait_alu 0xfffe
	s_mul_hi_u32 s23, s22, s23
	s_wait_alu 0xfffe
	s_add_co_i32 s22, s22, s23
	s_wait_alu 0xfffe
	s_mul_hi_u32 s22, s14, s22
	s_wait_alu 0xfffe
	s_mul_i32 s23, s22, s24
	s_add_co_i32 s25, s22, 1
	s_wait_alu 0xfffe
	s_sub_co_i32 s23, s14, s23
	s_wait_alu 0xfffe
	s_sub_co_i32 s26, s23, s24
	s_cmp_ge_u32 s23, s24
	s_cselect_b32 s22, s25, s22
	s_cselect_b32 s23, s26, s23
	s_wait_alu 0xfffe
	s_add_co_i32 s25, s22, 1
	s_cmp_ge_u32 s23, s24
	s_mov_b32 s23, 0
	s_wait_alu 0xfffe
	s_cselect_b32 s22, s25, s22
.LBB0_6:
	s_load_b64 s[10:11], s[10:11], 0x18
	v_and_b32_e32 v46, 15, v0
	v_lshrrev_b32_e32 v38, 4, v0
	s_mul_u64 s[16:17], s[18:19], s[16:17]
	s_wait_kmcnt 0x0
	s_mul_u64 s[8:9], s[20:21], s[8:9]
	s_wait_alu 0xfffe
	s_sub_nc_u64 s[14:15], s[14:15], s[16:17]
	v_mad_co_u64_u32 v[3:4], null, s6, v46, 0
	v_mad_co_u64_u32 v[7:8], null, s4, v38, 0
	v_mov_b32_e32 v2, 0
	s_wait_alu 0xfffe
	s_lshl_b64 s[14:15], s[14:15], 4
	s_wait_alu 0xfffe
	s_mul_u64 s[16:17], s[6:7], s[14:15]
	s_delay_alu instid0(VALU_DEP_3) | instskip(SKIP_1) | instid1(VALU_DEP_2)
	v_mov_b32_e32 v1, v4
	v_or_b32_e32 v5, s14, v46
	v_mad_co_u64_u32 v[9:10], null, s7, v46, v[1:2]
	v_mov_b32_e32 v1, v8
	s_wait_alu 0xfffe
	s_add_nc_u64 s[6:7], s[8:9], s[16:17]
	s_mul_u64 s[8:9], s[10:11], s[22:23]
	v_add_co_u32 v10, null, v3, v7
	s_wait_alu 0xfffe
	s_add_nc_u64 s[6:7], s[8:9], s[6:7]
	v_mov_b32_e32 v6, s15
	s_add_nc_u64 s[14:15], s[14:15], 16
	v_mad_co_u64_u32 v[7:8], null, s5, v38, v[1:2]
	s_wait_alu 0xfffe
	v_add_nc_u32_e32 v1, s6, v10
	v_cmp_le_u64_e64 s14, s[14:15], s[12:13]
	v_cmp_gt_u64_e32 vcc_lo, s[12:13], v[5:6]
	v_dual_mov_b32 v4, v9 :: v_dual_mov_b32 v9, 0
	v_mov_b32_e32 v8, 0
	s_delay_alu instid0(VALU_DEP_4)
	s_or_b32 s7, s14, vcc_lo
	s_wait_alu 0xfffe
	s_and_saveexec_b32 s8, s7
	s_cbranch_execz .LBB0_8
; %bb.7:
	v_lshlrev_b64_e32 v[6:7], 3, v[1:2]
	s_delay_alu instid0(VALU_DEP_1) | instskip(NEXT) | instid1(VALU_DEP_2)
	v_add_co_u32 v6, vcc_lo, s2, v6
	v_add_co_ci_u32_e32 v7, vcc_lo, s3, v7, vcc_lo
	global_load_b64 v[8:9], v[6:7], off
.LBB0_8:
	s_or_b32 exec_lo, exec_lo, s8
	v_dual_mov_b32 v10, 0 :: v_dual_add_nc_u32 v39, 16, v38
	s_and_saveexec_b32 s8, s7
	s_cbranch_execz .LBB0_10
; %bb.9:
	s_delay_alu instid0(VALU_DEP_1) | instskip(SKIP_1) | instid1(VALU_DEP_2)
	v_mul_lo_u32 v2, s4, v39
	v_mov_b32_e32 v7, 0
	v_add3_u32 v6, s6, v3, v2
	s_delay_alu instid0(VALU_DEP_1) | instskip(NEXT) | instid1(VALU_DEP_1)
	v_lshlrev_b64_e32 v[6:7], 3, v[6:7]
	v_add_co_u32 v6, vcc_lo, s2, v6
	s_wait_alu 0xfffd
	s_delay_alu instid0(VALU_DEP_2)
	v_add_co_ci_u32_e32 v7, vcc_lo, s3, v7, vcc_lo
	global_load_b64 v[10:11], v[6:7], off
	s_wait_loadcnt 0x0
	v_mov_b32_e32 v2, v11
.LBB0_10:
	s_or_b32 exec_lo, exec_lo, s8
	v_dual_mov_b32 v13, 0 :: v_dual_add_nc_u32 v40, 32, v38
	v_mov_b32_e32 v12, 0
	v_mov_b32_e32 v14, 0
	s_and_saveexec_b32 s8, s7
	s_cbranch_execz .LBB0_12
; %bb.11:
	v_mul_lo_u32 v6, s4, v40
	v_mov_b32_e32 v7, 0
	s_delay_alu instid0(VALU_DEP_2) | instskip(NEXT) | instid1(VALU_DEP_1)
	v_add3_u32 v6, s6, v3, v6
	v_lshlrev_b64_e32 v[6:7], 3, v[6:7]
	s_delay_alu instid0(VALU_DEP_1) | instskip(SKIP_1) | instid1(VALU_DEP_2)
	v_add_co_u32 v6, vcc_lo, s2, v6
	s_wait_alu 0xfffd
	v_add_co_ci_u32_e32 v7, vcc_lo, s3, v7, vcc_lo
	global_load_b64 v[13:14], v[6:7], off
.LBB0_12:
	s_or_b32 exec_lo, exec_lo, s8
	v_add_nc_u32_e32 v43, 48, v38
	v_mov_b32_e32 v11, 0
	s_and_saveexec_b32 s8, s7
	s_cbranch_execz .LBB0_14
; %bb.13:
	s_delay_alu instid0(VALU_DEP_2) | instskip(SKIP_1) | instid1(VALU_DEP_2)
	v_mul_lo_u32 v6, s4, v43
	v_mov_b32_e32 v7, 0
	v_add3_u32 v6, s6, v3, v6
	s_delay_alu instid0(VALU_DEP_1) | instskip(NEXT) | instid1(VALU_DEP_1)
	v_lshlrev_b64_e32 v[6:7], 3, v[6:7]
	v_add_co_u32 v6, vcc_lo, s2, v6
	s_wait_alu 0xfffd
	s_delay_alu instid0(VALU_DEP_2)
	v_add_co_ci_u32_e32 v7, vcc_lo, s3, v7, vcc_lo
	global_load_b64 v[11:12], v[6:7], off
.LBB0_14:
	s_or_b32 exec_lo, exec_lo, s8
	v_or_b32_e32 v41, 64, v38
	s_delay_alu instid0(VALU_DEP_1) | instskip(NEXT) | instid1(VALU_DEP_1)
	v_mad_co_u64_u32 v[6:7], null, s4, v41, v[3:4]
	v_dual_mov_b32 v4, v7 :: v_dual_mov_b32 v7, 0
	s_delay_alu instid0(VALU_DEP_2) | instskip(NEXT) | instid1(VALU_DEP_2)
	v_add_nc_u32_e32 v6, s6, v6
	v_mad_co_u64_u32 v[15:16], null, s5, v41, v[4:5]
	v_dual_mov_b32 v15, 0 :: v_dual_mov_b32 v16, 0
	s_and_saveexec_b32 s5, s7
	s_cbranch_execz .LBB0_16
; %bb.15:
	v_lshlrev_b64_e32 v[15:16], 3, v[6:7]
	s_delay_alu instid0(VALU_DEP_1) | instskip(SKIP_1) | instid1(VALU_DEP_2)
	v_add_co_u32 v15, vcc_lo, s2, v15
	s_wait_alu 0xfffd
	v_add_co_ci_u32_e32 v16, vcc_lo, s3, v16, vcc_lo
	global_load_b64 v[15:16], v[15:16], off
.LBB0_16:
	s_wait_alu 0xfffe
	s_or_b32 exec_lo, exec_lo, s5
	v_mov_b32_e32 v19, 0
	s_and_saveexec_b32 s5, s7
	s_cbranch_execz .LBB0_18
; %bb.17:
	v_add_nc_u32_e32 v4, 0x50, v38
	v_mov_b32_e32 v18, 0
	s_delay_alu instid0(VALU_DEP_2) | instskip(NEXT) | instid1(VALU_DEP_1)
	v_mul_lo_u32 v4, s4, v4
	v_add3_u32 v17, s6, v3, v4
	s_delay_alu instid0(VALU_DEP_1) | instskip(NEXT) | instid1(VALU_DEP_1)
	v_lshlrev_b64_e32 v[17:18], 3, v[17:18]
	v_add_co_u32 v17, vcc_lo, s2, v17
	s_wait_alu 0xfffd
	s_delay_alu instid0(VALU_DEP_2)
	v_add_co_ci_u32_e32 v18, vcc_lo, s3, v18, vcc_lo
	global_load_b64 v[19:20], v[17:18], off
	s_wait_loadcnt 0x0
	v_mov_b32_e32 v7, v20
.LBB0_18:
	s_wait_alu 0xfffe
	s_or_b32 exec_lo, exec_lo, s5
	v_dual_mov_b32 v23, 0 :: v_dual_mov_b32 v24, 0
	v_mov_b32_e32 v25, 0
	s_and_saveexec_b32 s5, s7
	s_cbranch_execz .LBB0_20
; %bb.19:
	v_add_nc_u32_e32 v4, 0x60, v38
	v_mov_b32_e32 v18, 0
	s_delay_alu instid0(VALU_DEP_2) | instskip(NEXT) | instid1(VALU_DEP_1)
	v_mul_lo_u32 v4, s4, v4
	v_add3_u32 v17, s6, v3, v4
	s_delay_alu instid0(VALU_DEP_1) | instskip(NEXT) | instid1(VALU_DEP_1)
	v_lshlrev_b64_e32 v[17:18], 3, v[17:18]
	v_add_co_u32 v17, vcc_lo, s2, v17
	s_wait_alu 0xfffd
	s_delay_alu instid0(VALU_DEP_2)
	v_add_co_ci_u32_e32 v18, vcc_lo, s3, v18, vcc_lo
	global_load_b64 v[24:25], v[17:18], off
.LBB0_20:
	s_wait_alu 0xfffe
	s_or_b32 exec_lo, exec_lo, s5
	v_mov_b32_e32 v22, 0
	s_and_saveexec_b32 s5, s7
	s_cbranch_execz .LBB0_22
; %bb.21:
	v_add_nc_u32_e32 v4, 0x70, v38
	v_mov_b32_e32 v18, 0
	s_delay_alu instid0(VALU_DEP_2) | instskip(NEXT) | instid1(VALU_DEP_1)
	v_mul_lo_u32 v4, s4, v4
	v_add3_u32 v17, s6, v3, v4
	s_delay_alu instid0(VALU_DEP_1) | instskip(NEXT) | instid1(VALU_DEP_1)
	v_lshlrev_b64_e32 v[17:18], 3, v[17:18]
	v_add_co_u32 v17, vcc_lo, s2, v17
	s_wait_alu 0xfffd
	s_delay_alu instid0(VALU_DEP_2)
	v_add_co_ci_u32_e32 v18, vcc_lo, s3, v18, vcc_lo
	global_load_b64 v[22:23], v[17:18], off
.LBB0_22:
	s_wait_alu 0xfffe
	s_or_b32 exec_lo, exec_lo, s5
	v_dual_mov_b32 v21, 0 :: v_dual_add_nc_u32 v4, 8, v38
	v_mov_b32_e32 v18, 0
	v_mov_b32_e32 v20, 0
	s_and_saveexec_b32 s5, s7
	s_cbranch_execz .LBB0_24
; %bb.23:
	v_mul_lo_u32 v17, s4, v4
	v_mov_b32_e32 v21, 0
	s_delay_alu instid0(VALU_DEP_2) | instskip(NEXT) | instid1(VALU_DEP_1)
	v_add3_u32 v20, s6, v3, v17
	v_lshlrev_b64_e32 v[20:21], 3, v[20:21]
	s_delay_alu instid0(VALU_DEP_1) | instskip(SKIP_1) | instid1(VALU_DEP_2)
	v_add_co_u32 v20, vcc_lo, s2, v20
	s_wait_alu 0xfffd
	v_add_co_ci_u32_e32 v21, vcc_lo, s3, v21, vcc_lo
	global_load_b64 v[20:21], v[20:21], off
.LBB0_24:
	s_wait_alu 0xfffe
	s_or_b32 exec_lo, exec_lo, s5
	v_dual_mov_b32 v17, 0 :: v_dual_add_nc_u32 v42, 24, v38
	s_and_saveexec_b32 s5, s7
	s_cbranch_execz .LBB0_26
; %bb.25:
	s_delay_alu instid0(VALU_DEP_1) | instskip(SKIP_1) | instid1(VALU_DEP_2)
	v_mul_lo_u32 v17, s4, v42
	v_mov_b32_e32 v18, 0
	v_add3_u32 v17, s6, v3, v17
	s_delay_alu instid0(VALU_DEP_1) | instskip(NEXT) | instid1(VALU_DEP_1)
	v_lshlrev_b64_e32 v[17:18], 3, v[17:18]
	v_add_co_u32 v17, vcc_lo, s2, v17
	s_wait_alu 0xfffd
	s_delay_alu instid0(VALU_DEP_2)
	v_add_co_ci_u32_e32 v18, vcc_lo, s3, v18, vcc_lo
	global_load_b64 v[17:18], v[17:18], off
.LBB0_26:
	s_wait_alu 0xfffe
	s_or_b32 exec_lo, exec_lo, s5
	v_dual_mov_b32 v27, 0 :: v_dual_add_nc_u32 v44, 40, v38
	v_dual_mov_b32 v29, 0 :: v_dual_mov_b32 v28, 0
	s_and_saveexec_b32 s5, s7
	s_cbranch_execz .LBB0_28
; %bb.27:
	s_delay_alu instid0(VALU_DEP_2) | instskip(SKIP_1) | instid1(VALU_DEP_2)
	v_mul_lo_u32 v26, s4, v44
	v_mov_b32_e32 v29, 0
	v_add3_u32 v28, s6, v3, v26
	s_delay_alu instid0(VALU_DEP_1) | instskip(NEXT) | instid1(VALU_DEP_1)
	v_lshlrev_b64_e32 v[28:29], 3, v[28:29]
	v_add_co_u32 v28, vcc_lo, s2, v28
	s_wait_alu 0xfffd
	s_delay_alu instid0(VALU_DEP_2)
	v_add_co_ci_u32_e32 v29, vcc_lo, s3, v29, vcc_lo
	global_load_b64 v[28:29], v[28:29], off
.LBB0_28:
	s_wait_alu 0xfffe
	s_or_b32 exec_lo, exec_lo, s5
	v_dual_mov_b32 v26, 0 :: v_dual_add_nc_u32 v45, 56, v38
	s_and_saveexec_b32 s5, s7
	s_cbranch_execz .LBB0_30
; %bb.29:
	s_delay_alu instid0(VALU_DEP_1) | instskip(SKIP_1) | instid1(VALU_DEP_2)
	v_mul_lo_u32 v26, s4, v45
	v_mov_b32_e32 v27, 0
	v_add3_u32 v26, s6, v3, v26
	s_delay_alu instid0(VALU_DEP_1) | instskip(NEXT) | instid1(VALU_DEP_1)
	v_lshlrev_b64_e32 v[26:27], 3, v[26:27]
	v_add_co_u32 v26, vcc_lo, s2, v26
	s_wait_alu 0xfffd
	s_delay_alu instid0(VALU_DEP_2)
	v_add_co_ci_u32_e32 v27, vcc_lo, s3, v27, vcc_lo
	global_load_b64 v[26:27], v[26:27], off
.LBB0_30:
	s_wait_alu 0xfffe
	s_or_b32 exec_lo, exec_lo, s5
	v_dual_mov_b32 v31, 0 :: v_dual_mov_b32 v32, 0
	v_mov_b32_e32 v33, 0
	s_and_saveexec_b32 s5, s7
	s_cbranch_execz .LBB0_32
; %bb.31:
	v_dual_mov_b32 v33, 0 :: v_dual_add_nc_u32 v30, 0x48, v38
	s_delay_alu instid0(VALU_DEP_1) | instskip(NEXT) | instid1(VALU_DEP_1)
	v_mul_lo_u32 v30, s4, v30
	v_add3_u32 v32, s6, v3, v30
	s_delay_alu instid0(VALU_DEP_1) | instskip(NEXT) | instid1(VALU_DEP_1)
	v_lshlrev_b64_e32 v[32:33], 3, v[32:33]
	v_add_co_u32 v32, vcc_lo, s2, v32
	s_wait_alu 0xfffd
	s_delay_alu instid0(VALU_DEP_2)
	v_add_co_ci_u32_e32 v33, vcc_lo, s3, v33, vcc_lo
	global_load_b64 v[32:33], v[32:33], off
.LBB0_32:
	s_wait_alu 0xfffe
	s_or_b32 exec_lo, exec_lo, s5
	v_mov_b32_e32 v30, 0
	s_and_saveexec_b32 s5, s7
	s_cbranch_execz .LBB0_34
; %bb.33:
	v_dual_mov_b32 v31, 0 :: v_dual_add_nc_u32 v30, 0x58, v38
	s_delay_alu instid0(VALU_DEP_1) | instskip(NEXT) | instid1(VALU_DEP_1)
	v_mul_lo_u32 v30, s4, v30
	v_add3_u32 v30, s6, v3, v30
	s_delay_alu instid0(VALU_DEP_1) | instskip(NEXT) | instid1(VALU_DEP_1)
	v_lshlrev_b64_e32 v[30:31], 3, v[30:31]
	v_add_co_u32 v30, vcc_lo, s2, v30
	s_wait_alu 0xfffd
	s_delay_alu instid0(VALU_DEP_2)
	v_add_co_ci_u32_e32 v31, vcc_lo, s3, v31, vcc_lo
	global_load_b64 v[30:31], v[30:31], off
.LBB0_34:
	s_wait_alu 0xfffe
	s_or_b32 exec_lo, exec_lo, s5
	s_load_b64 s[8:9], s[0:1], 0x0
	v_dual_mov_b32 v35, 0 :: v_dual_mov_b32 v36, 0
	v_mov_b32_e32 v37, 0
	s_and_saveexec_b32 s5, s7
	s_cbranch_execz .LBB0_36
; %bb.35:
	v_dual_mov_b32 v37, 0 :: v_dual_add_nc_u32 v34, 0x68, v38
	s_delay_alu instid0(VALU_DEP_1) | instskip(NEXT) | instid1(VALU_DEP_1)
	v_mul_lo_u32 v34, s4, v34
	v_add3_u32 v36, s6, v3, v34
	s_delay_alu instid0(VALU_DEP_1) | instskip(NEXT) | instid1(VALU_DEP_1)
	v_lshlrev_b64_e32 v[36:37], 3, v[36:37]
	v_add_co_u32 v36, vcc_lo, s2, v36
	s_wait_alu 0xfffd
	s_delay_alu instid0(VALU_DEP_2)
	v_add_co_ci_u32_e32 v37, vcc_lo, s3, v37, vcc_lo
	global_load_b64 v[36:37], v[36:37], off
.LBB0_36:
	s_wait_alu 0xfffe
	s_or_b32 exec_lo, exec_lo, s5
	v_mov_b32_e32 v34, 0
	s_and_saveexec_b32 s5, s7
	s_cbranch_execz .LBB0_38
; %bb.37:
	v_dual_mov_b32 v35, 0 :: v_dual_add_nc_u32 v34, 0x78, v38
	s_delay_alu instid0(VALU_DEP_1) | instskip(NEXT) | instid1(VALU_DEP_1)
	v_mul_lo_u32 v34, s4, v34
	v_add3_u32 v34, s6, v3, v34
	s_delay_alu instid0(VALU_DEP_1) | instskip(NEXT) | instid1(VALU_DEP_1)
	v_lshlrev_b64_e32 v[34:35], 3, v[34:35]
	v_add_co_u32 v34, vcc_lo, s2, v34
	s_wait_alu 0xfffd
	s_delay_alu instid0(VALU_DEP_2)
	v_add_co_ci_u32_e32 v35, vcc_lo, s3, v35, vcc_lo
	global_load_b64 v[34:35], v[34:35], off
.LBB0_38:
	s_wait_alu 0xfffe
	s_or_b32 exec_lo, exec_lo, s5
	s_wait_loadcnt 0x0
	v_dual_sub_f32 v15, v8, v15 :: v_dual_sub_f32 v16, v9, v16
	v_dual_sub_f32 v24, v13, v24 :: v_dual_sub_f32 v25, v14, v25
	v_sub_f32_e32 v7, v2, v7
	v_dual_sub_f32 v19, v10, v19 :: v_dual_sub_f32 v22, v11, v22
	s_delay_alu instid0(VALU_DEP_3) | instskip(SKIP_1) | instid1(VALU_DEP_4)
	v_sub_f32_e32 v50, v16, v24
	v_fma_f32 v9, v9, 2.0, -v16
	v_fma_f32 v2, v2, 2.0, -v7
	v_sub_f32_e32 v23, v12, v23
	v_fma_f32 v14, v14, 2.0, -v25
	v_fma_f32 v8, v8, 2.0, -v15
	;; [unrolled: 1-line block ×7, first 2 shown]
	v_dual_sub_f32 v31, v18, v31 :: v_dual_sub_f32 v30, v17, v30
	s_delay_alu instid0(VALU_DEP_4) | instskip(SKIP_1) | instid1(VALU_DEP_3)
	v_sub_f32_e32 v12, v2, v12
	v_and_b32_e32 v60, 31, v4
	v_fma_f32 v18, v18, 2.0, -v31
	s_delay_alu instid0(VALU_DEP_4) | instskip(NEXT) | instid1(VALU_DEP_4)
	v_fma_f32 v17, v17, 2.0, -v30
	v_fma_f32 v2, v2, 2.0, -v12
	v_add_f32_e32 v49, v15, v25
	v_sub_f32_e32 v25, v9, v14
	v_sub_f32_e32 v51, v7, v22
	s_delay_alu instid0(VALU_DEP_3) | instskip(SKIP_1) | instid1(VALU_DEP_3)
	v_fma_f32 v14, v15, 2.0, -v49
	v_add_f32_e32 v15, v19, v23
	v_dual_sub_f32 v23, v10, v11 :: v_dual_fmamk_f32 v48, v51, 0x3f3504f3, v50
	v_fma_f32 v11, v7, 2.0, -v51
	v_sub_f32_e32 v47, v8, v13
	v_fma_f32 v22, v9, 2.0, -v25
	s_delay_alu instid0(VALU_DEP_2) | instskip(SKIP_1) | instid1(VALU_DEP_3)
	v_fma_f32 v13, v8, 2.0, -v47
	v_fma_f32 v8, v10, 2.0, -v23
	v_sub_f32_e32 v10, v22, v2
	v_sub_f32_e32 v2, v20, v32
	v_fma_f32 v19, v19, 2.0, -v15
	s_delay_alu instid0(VALU_DEP_4) | instskip(SKIP_1) | instid1(VALU_DEP_3)
	v_dual_fmac_f32 v48, 0xbf3504f3, v15 :: v_dual_sub_f32 v9, v13, v8
	v_fmamk_f32 v8, v11, 0xbf3504f3, v16
	v_dual_sub_f32 v32, v26, v34 :: v_dual_fmamk_f32 v7, v19, 0xbf3504f3, v14
	s_delay_alu instid0(VALU_DEP_2) | instskip(SKIP_1) | instid1(VALU_DEP_3)
	v_fmac_f32_e32 v8, 0xbf3504f3, v19
	v_fma_f32 v19, v20, 2.0, -v2
	v_fmac_f32_e32 v7, 0x3f3504f3, v11
	v_fma_f32 v11, v13, 2.0, -v9
	v_add_f32_e32 v13, v47, v12
	v_fma_f32 v12, v22, 2.0, -v10
	v_fma_f32 v26, v26, 2.0, -v32
	v_fma_f32 v22, v14, 2.0, -v7
	v_sub_f32_e32 v14, v25, v23
	v_fma_f32 v23, v16, 2.0, -v8
	v_dual_sub_f32 v16, v21, v33 :: v_dual_sub_f32 v33, v27, v35
	v_fma_f32 v24, v47, 2.0, -v13
	v_sub_f32_e32 v52, v31, v32
	v_fma_f32 v25, v25, 2.0, -v14
	s_delay_alu instid0(VALU_DEP_4) | instskip(SKIP_3) | instid1(VALU_DEP_3)
	v_fma_f32 v20, v21, 2.0, -v16
	v_fma_f32 v27, v27, 2.0, -v33
	v_fmamk_f32 v47, v15, 0x3f3504f3, v49
	v_sub_f32_e32 v15, v28, v36
	v_dual_sub_f32 v21, v29, v37 :: v_dual_sub_f32 v32, v18, v27
	s_delay_alu instid0(VALU_DEP_2) | instskip(NEXT) | instid1(VALU_DEP_4)
	v_fma_f32 v28, v28, 2.0, -v15
	v_fmac_f32_e32 v47, 0x3f3504f3, v51
	s_delay_alu instid0(VALU_DEP_3) | instskip(SKIP_1) | instid1(VALU_DEP_4)
	v_fma_f32 v29, v29, 2.0, -v21
	v_add_f32_e32 v51, v30, v33
	v_dual_sub_f32 v15, v16, v15 :: v_dual_sub_f32 v36, v19, v28
	v_add_f32_e32 v21, v2, v21
	v_fma_f32 v27, v18, 2.0, -v32
	s_delay_alu instid0(VALU_DEP_3) | instskip(NEXT) | instid1(VALU_DEP_4)
	v_fma_f32 v16, v16, 2.0, -v15
	v_add_f32_e32 v32, v36, v32
	s_delay_alu instid0(VALU_DEP_4)
	v_dual_sub_f32 v37, v20, v29 :: v_dual_fmamk_f32 v34, v51, 0x3f3504f3, v21
	v_fma_f32 v2, v2, 2.0, -v21
	v_sub_f32_e32 v33, v17, v26
	v_fma_f32 v29, v30, 2.0, -v51
	v_fma_f32 v30, v31, 2.0, -v52
	v_fmac_f32_e32 v34, 0x3f3504f3, v52
	v_fma_f32 v31, v20, 2.0, -v37
	v_fma_f32 v20, v17, 2.0, -v33
	v_fmamk_f32 v17, v29, 0xbf3504f3, v2
	v_fmamk_f32 v18, v30, 0xbf3504f3, v16
	v_fma_f32 v28, v19, 2.0, -v36
	v_sub_f32_e32 v27, v31, v27
	v_fma_f32 v19, v49, 2.0, -v47
	v_fmac_f32_e32 v17, 0x3f3504f3, v30
	v_fmac_f32_e32 v18, 0xbf3504f3, v29
	v_sub_f32_e32 v26, v28, v20
	v_fma_f32 v29, v31, 2.0, -v27
	v_fma_f32 v20, v50, 2.0, -v48
	;; [unrolled: 1-line block ×3, first 2 shown]
	v_dual_fmamk_f32 v35, v52, 0x3f3504f3, v15 :: v_dual_lshlrev_b32 v2, 10, v38
	v_fma_f32 v31, v16, 2.0, -v18
	v_lshlrev_b32_e32 v16, 3, v46
	v_fma_f32 v49, v21, 2.0, -v34
	v_sub_f32_e32 v33, v37, v33
	v_fmac_f32_e32 v35, 0xbf3504f3, v51
	v_fma_f32 v28, v28, 2.0, -v26
	v_add3_u32 v51, 0, v2, v16
	v_lshlrev_b32_e32 v2, 10, v4
	v_fma_f32 v36, v36, 2.0, -v32
	v_fma_f32 v50, v15, 2.0, -v35
	v_bfe_u32 v15, v0, 4, 3
	v_fma_f32 v37, v37, 2.0, -v33
	v_add3_u32 v21, 0, v2, v16
	ds_store_2addr_b64 v51, v[11:12], v[22:23] offset1:16
	ds_store_2addr_b64 v51, v[24:25], v[19:20] offset0:32 offset1:48
	ds_store_2addr_b64 v51, v[9:10], v[7:8] offset0:64 offset1:80
	;; [unrolled: 1-line block ×3, first 2 shown]
	v_mul_u32_u24_e32 v2, 3, v15
	v_lshlrev_b32_e32 v8, 7, v42
	s_delay_alu instid0(VALU_DEP_2)
	v_lshlrev_b32_e32 v2, 3, v2
	ds_store_2addr_b64 v21, v[28:29], v[30:31] offset1:16
	ds_store_2addr_b64 v21, v[36:37], v[49:50] offset0:32 offset1:48
	ds_store_2addr_b64 v21, v[26:27], v[17:18] offset0:64 offset1:80
	;; [unrolled: 1-line block ×3, first 2 shown]
	global_wb scope:SCOPE_SE
	s_wait_dscnt 0x0
	s_wait_kmcnt 0x0
	s_barrier_signal -1
	s_barrier_wait -1
	global_inv scope:SCOPE_SE
	s_clause 0x1
	global_load_b128 v[10:13], v2, s[8:9]
	global_load_b64 v[46:47], v2, s[8:9] offset:16
	v_lshlrev_b32_e32 v9, 2, v38
	v_bfe_u32 v37, v0, 4, 5
	v_lshlrev_b32_e32 v2, 7, v40
	v_lshlrev_b32_e32 v17, 2, v4
	;; [unrolled: 1-line block ×3, first 2 shown]
	v_and_or_b32 v0, 0xe0, v9, v15
	v_mad_i32_i24 v9, 0xfffffc80, v38, v51
	v_add3_u32 v14, 0, v2, v16
	ds_load_b64 v[48:49], v9
	ds_load_b64 v[50:51], v14
	v_add_nc_u32_e32 v26, 0x1400, v9
	v_lshlrev_b32_e32 v7, 7, v39
	v_lshlrev_b32_e32 v64, 3, v37
	ds_load_2addr_b32 v[52:53], v26 offset1:1
	s_wait_loadcnt_dscnt 0x100
	v_dual_mul_f32 v76, v11, v52 :: v_dual_lshlrev_b32 v19, 2, v42
	s_delay_alu instid0(VALU_DEP_1)
	v_and_or_b32 v22, 0x1e0, v19, v15
	v_mul_f32_e32 v70, v11, v50
	v_add3_u32 v2, 0, v7, v16
	v_add3_u32 v7, 0, v8, v16
	v_and_or_b32 v8, 0x1e0, v17, v15
	v_and_or_b32 v17, 0x1e0, v18, v15
	v_mad_i32_i24 v15, 0xfffffc80, v4, v21
	v_lshlrev_b32_e32 v27, 7, v22
	ds_load_2addr_stride64_b64 v[21:24], v9 offset0:24 offset1:26
	v_and_b32_e32 v63, 31, v45
	v_lshlrev_b32_e32 v25, 7, v17
	ds_load_2addr_stride64_b64 v[17:20], v9 offset0:16 offset1:18
	v_add3_u32 v68, 0, v27, v16
	v_and_b32_e32 v61, 31, v44
	v_and_b32_e32 v62, 31, v43
	v_add3_u32 v67, 0, v25, v16
	ds_load_b64 v[54:55], v15
	ds_load_b64 v[56:57], v2
	ds_load_2addr_stride64_b64 v[25:28], v9 offset0:12 offset1:14
	ds_load_2addr_stride64_b64 v[29:32], v9 offset0:20 offset1:22
	;; [unrolled: 1-line block ×3, first 2 shown]
	ds_load_b64 v[58:59], v7
	v_lshlrev_b32_e32 v0, 7, v0
	v_dual_mul_f32 v69, v11, v51 :: v_dual_lshlrev_b32 v8, 7, v8
	v_mul_f32_e32 v75, v53, v11
	global_wb scope:SCOPE_SE
	s_wait_loadcnt_dscnt 0x0
	s_barrier_signal -1
	s_barrier_wait -1
	global_inv scope:SCOPE_SE
	v_mul_f32_e32 v73, v47, v22
	v_dual_mul_f32 v74, v47, v21 :: v_dual_mul_f32 v79, v24, v47
	v_mul_f32_e32 v77, v20, v13
	v_mul_f32_e32 v71, v13, v18
	;; [unrolled: 1-line block ×6, first 2 shown]
	v_dual_mul_f32 v82, v25, v11 :: v_dual_lshlrev_b32 v65, 3, v61
	v_dual_mul_f32 v81, v26, v11 :: v_dual_lshlrev_b32 v66, 3, v62
	v_mul_f32_e32 v88, v32, v13
	v_dual_mul_f32 v83, v30, v13 :: v_dual_mul_f32 v86, v33, v47
	v_fmac_f32_e32 v71, v12, v17
	v_mul_f32_e32 v13, v31, v13
	v_fma_f32 v17, v12, v18, -v72
	v_fmac_f32_e32 v73, v46, v21
	v_fma_f32 v18, v46, v22, -v74
	v_fma_f32 v21, v53, v10, -v76
	v_fmac_f32_e32 v77, v19, v12
	v_mul_f32_e32 v87, v28, v11
	v_fma_f32 v19, v20, v12, -v78
	v_fmac_f32_e32 v79, v23, v46
	v_fma_f32 v20, v24, v46, -v80
	v_mul_f32_e32 v11, v27, v11
	v_fma_f32 v23, v30, v12, -v84
	v_fmac_f32_e32 v69, v10, v50
	v_fma_f32 v50, v10, v51, -v70
	v_fmac_f32_e32 v81, v25, v10
	v_fma_f32 v22, v26, v10, -v82
	v_fma_f32 v24, v34, v46, -v86
	v_mul_f32_e32 v89, v36, v47
	v_fma_f32 v25, v28, v10, -v11
	v_sub_f32_e32 v26, v48, v71
	v_sub_f32_e32 v28, v54, v77
	v_fmac_f32_e32 v75, v10, v52
	v_fmac_f32_e32 v87, v27, v10
	v_fma_f32 v10, v32, v12, -v13
	v_dual_sub_f32 v13, v50, v18 :: v_dual_sub_f32 v32, v57, v23
	v_mul_f32_e32 v85, v34, v47
	v_mul_f32_e32 v47, v35, v47
	v_fmac_f32_e32 v88, v31, v12
	v_sub_f32_e32 v18, v21, v20
	v_sub_f32_e32 v20, v22, v24
	v_fma_f32 v52, v57, 2.0, -v32
	v_fma_f32 v11, v36, v46, -v47
	v_fmac_f32_e32 v83, v29, v12
	v_fmac_f32_e32 v89, v35, v46
	v_dual_sub_f32 v36, v59, v10 :: v_dual_sub_f32 v35, v58, v88
	s_delay_alu instid0(VALU_DEP_4)
	v_sub_f32_e32 v24, v25, v11
	v_sub_f32_e32 v12, v69, v73
	v_fmac_f32_e32 v85, v33, v46
	v_fma_f32 v46, v48, 2.0, -v26
	v_fma_f32 v48, v54, 2.0, -v28
	;; [unrolled: 1-line block ×6, first 2 shown]
	v_sub_f32_e32 v29, v55, v19
	v_sub_f32_e32 v23, v87, v89
	;; [unrolled: 1-line block ×4, first 2 shown]
	v_dual_sub_f32 v31, v56, v83 :: v_dual_add_f32 v10, v26, v13
	s_delay_alu instid0(VALU_DEP_4) | instskip(SKIP_2) | instid1(VALU_DEP_4)
	v_fma_f32 v57, v87, 2.0, -v23
	v_add3_u32 v0, 0, v0, v16
	v_fma_f32 v46, v46, 2.0, -v21
	v_fma_f32 v51, v56, 2.0, -v31
	;; [unrolled: 1-line block ×3, first 2 shown]
	v_sub_f32_e32 v27, v49, v17
	v_add3_u32 v8, 0, v8, v16
	s_delay_alu instid0(VALU_DEP_2) | instskip(SKIP_3) | instid1(VALU_DEP_4)
	v_fma_f32 v47, v49, 2.0, -v27
	v_dual_sub_f32 v11, v27, v12 :: v_dual_add_f32 v12, v28, v18
	v_sub_f32_e32 v17, v75, v79
	v_fma_f32 v49, v55, 2.0, -v29
	v_sub_f32_e32 v22, v47, v33
	v_sub_f32_e32 v19, v81, v85
	v_fma_f32 v55, v58, 2.0, -v35
	v_fma_f32 v34, v75, 2.0, -v17
	v_sub_f32_e32 v13, v29, v17
	v_fma_f32 v58, v25, 2.0, -v24
	v_fma_f32 v53, v81, 2.0, -v19
	v_dual_add_f32 v17, v31, v20 :: v_dual_sub_f32 v20, v36, v23
	v_fma_f32 v23, v26, 2.0, -v10
	v_sub_f32_e32 v25, v48, v34
	v_sub_f32_e32 v26, v49, v50
	v_dual_sub_f32 v18, v32, v19 :: v_dual_add_f32 v19, v35, v24
	v_sub_f32_e32 v34, v56, v58
	v_fma_f32 v24, v27, 2.0, -v11
	v_fma_f32 v27, v28, 2.0, -v12
	;; [unrolled: 1-line block ×3, first 2 shown]
	v_sub_f32_e32 v29, v51, v53
	v_sub_f32_e32 v33, v55, v57
	v_fma_f32 v47, v47, 2.0, -v22
	v_fma_f32 v48, v48, 2.0, -v25
	;; [unrolled: 1-line block ×11, first 2 shown]
	ds_store_2addr_stride64_b64 v0, v[21:22], v[10:11] offset0:4 offset1:6
	ds_store_2addr_stride64_b64 v0, v[46:47], v[23:24] offset1:2
	ds_store_2addr_stride64_b64 v8, v[48:49], v[27:28] offset1:2
	ds_store_2addr_stride64_b64 v8, v[25:26], v[12:13] offset0:4 offset1:6
	ds_store_2addr_stride64_b64 v67, v[50:51], v[31:32] offset1:2
	ds_store_2addr_stride64_b64 v67, v[29:30], v[17:18] offset0:4 offset1:6
	;; [unrolled: 2-line block ×3, first 2 shown]
	global_wb scope:SCOPE_SE
	s_wait_dscnt 0x0
	s_barrier_signal -1
	s_barrier_wait -1
	global_inv scope:SCOPE_SE
	s_clause 0x2
	global_load_b64 v[46:47], v64, s[8:9] offset:192
	global_load_b64 v[48:49], v65, s[8:9] offset:192
	;; [unrolled: 1-line block ×3, first 2 shown]
	v_lshlrev_b32_e32 v0, 3, v63
	v_lshlrev_b32_e32 v8, 3, v60
	s_clause 0x2
	global_load_b64 v[52:53], v0, s[8:9] offset:192
	global_load_b32 v70, v8, s[8:9] offset:192
	global_load_b32 v71, v65, s[8:9] offset:196
	v_and_b32_e32 v18, 31, v39
	v_and_b32_e32 v22, 31, v42
	v_lshlrev_b32_e32 v10, 1, v44
	v_lshlrev_b32_e32 v23, 1, v38
	;; [unrolled: 1-line block ×4, first 2 shown]
	s_clause 0x1
	global_load_b32 v72, v66, s[8:9] offset:196
	global_load_b32 v73, v8, s[8:9] offset:192
	v_lshlrev_b32_e32 v8, 3, v22
	s_clause 0x1
	global_load_b32 v74, v0, s[8:9] offset:196
	global_load_b32 v75, v8, s[8:9] offset:192
	v_lshlrev_b32_e32 v11, 1, v40
	v_lshlrev_b32_e32 v8, 1, v43
	;; [unrolled: 1-line block ×3, first 2 shown]
	v_and_or_b32 v26, 0xc0, v10, v61
	v_and_or_b32 v23, v23, 64, v37
	;; [unrolled: 1-line block ×5, first 2 shown]
	v_lshlrev_b32_e32 v30, 7, v26
	v_and_or_b32 v22, 0xc0, v12, v22
	v_lshlrev_b32_e32 v29, 7, v25
	v_lshlrev_b32_e32 v31, 7, v27
	;; [unrolled: 1-line block ×5, first 2 shown]
	v_add3_u32 v79, 0, v29, v16
	ds_load_2addr_stride64_b64 v[26:29], v9 offset0:18 offset1:20
	v_lshlrev_b32_e32 v13, 1, v39
	v_add3_u32 v76, 0, v23, v16
	v_add3_u32 v78, 0, v22, v16
	v_lshlrev_b32_e32 v20, 7, v43
	v_lshlrev_b32_e32 v21, 7, v45
	v_and_or_b32 v18, 0xc0, v13, v18
	v_add3_u32 v80, 0, v30, v16
	v_add3_u32 v81, 0, v31, v16
	;; [unrolled: 1-line block ×4, first 2 shown]
	v_lshlrev_b32_e32 v18, 7, v18
	s_delay_alu instid0(VALU_DEP_1) | instskip(SKIP_3) | instid1(VALU_DEP_1)
	v_add3_u32 v18, 0, v18, v16
	s_wait_loadcnt_dscnt 0x800
	v_dual_mul_f32 v84, v49, v27 :: v_dual_lshlrev_b32 v17, 1, v4
	s_wait_loadcnt 0x5
	v_fmac_f32_e32 v84, v70, v26
	s_delay_alu instid0(VALU_DEP_2) | instskip(NEXT) | instid1(VALU_DEP_1)
	v_and_or_b32 v24, 0xc0, v17, v60
	v_lshlrev_b32_e32 v24, 7, v24
	s_delay_alu instid0(VALU_DEP_1) | instskip(SKIP_3) | instid1(VALU_DEP_1)
	v_add3_u32 v77, 0, v24, v16
	ds_load_2addr_stride64_b64 v[22:25], v9 offset1:16
	s_wait_dscnt 0x0
	v_dual_mul_f32 v82, v47, v25 :: v_dual_lshlrev_b32 v19, 7, v44
	v_add3_u32 v19, 0, v19, v16
	v_add3_u32 v16, 0, v32, v16
	ds_load_2addr_stride64_b64 v[30:33], v9 offset0:22 offset1:24
	ds_load_b64 v[54:55], v2
	ds_load_2addr_stride64_b64 v[34:37], v9 offset0:26 offset1:28
	ds_load_b64 v[56:57], v7
	ds_load_b64 v[58:59], v19
	;; [unrolled: 1-line block ×6, first 2 shown]
	ds_load_b64 v[68:69], v9 offset:15360
	v_dual_mul_f32 v49, v49, v26 :: v_dual_fmac_f32 v82, v46, v24
	v_mul_f32_e32 v83, v47, v24
	global_wb scope:SCOPE_SE
	s_wait_loadcnt_dscnt 0x0
	s_barrier_signal -1
	v_fma_f32 v27, v70, v27, -v49
	v_sub_f32_e32 v24, v22, v82
	v_fma_f32 v25, v46, v25, -v83
	s_barrier_wait -1
	global_inv scope:SCOPE_SE
	v_mul_f32_e32 v86, v53, v31
	v_fma_f32 v22, v22, 2.0, -v24
	v_dual_mul_f32 v88, v35, v71 :: v_dual_mul_f32 v49, v37, v72
	v_mul_f32_e32 v26, v36, v72
	s_delay_alu instid0(VALU_DEP_4) | instskip(NEXT) | instid1(VALU_DEP_3)
	v_fmac_f32_e32 v86, v75, v30
	v_dual_mul_f32 v85, v51, v29 :: v_dual_fmac_f32 v88, v34, v48
	v_mul_f32_e32 v87, v33, v47
	v_mul_f32_e32 v47, v32, v47
	v_fmac_f32_e32 v49, v36, v50
	v_mul_f32_e32 v71, v34, v71
	s_delay_alu instid0(VALU_DEP_4)
	v_dual_sub_f32 v34, v58, v88 :: v_dual_fmac_f32 v87, v32, v46
	v_mul_f32_e32 v53, v53, v30
	v_dual_sub_f32 v30, v56, v86 :: v_dual_fmac_f32 v85, v73, v28
	v_dual_mul_f32 v51, v51, v28 :: v_dual_mul_f32 v28, v68, v74
	v_fma_f32 v33, v33, v46, -v47
	v_sub_f32_e32 v32, v66, v87
	v_fma_f32 v31, v75, v31, -v53
	v_fma_f32 v37, v37, v50, -v26
	;; [unrolled: 1-line block ×3, first 2 shown]
	v_sub_f32_e32 v28, v54, v85
	v_fma_f32 v29, v73, v29, -v51
	v_mul_f32_e32 v51, v69, v74
	v_sub_f32_e32 v25, v23, v25
	v_sub_f32_e32 v36, v60, v49
	v_fma_f32 v35, v35, v48, -v71
	v_sub_f32_e32 v26, v64, v84
	v_fmac_f32_e32 v51, v68, v52
	v_sub_f32_e32 v27, v65, v27
	v_sub_f32_e32 v29, v55, v29
	;; [unrolled: 1-line block ×5, first 2 shown]
	v_dual_sub_f32 v37, v61, v37 :: v_dual_sub_f32 v46, v62, v51
	v_sub_f32_e32 v47, v63, v47
	v_fma_f32 v23, v23, 2.0, -v25
	v_fma_f32 v48, v64, 2.0, -v26
	;; [unrolled: 1-line block ×15, first 2 shown]
	ds_store_2addr_stride64_b64 v76, v[22:23], v[24:25] offset1:8
	ds_store_2addr_stride64_b64 v77, v[48:49], v[26:27] offset1:8
	;; [unrolled: 1-line block ×8, first 2 shown]
	global_wb scope:SCOPE_SE
	s_wait_dscnt 0x0
	s_barrier_signal -1
	s_barrier_wait -1
	global_inv scope:SCOPE_SE
	s_and_saveexec_b32 s5, s7
	s_cbranch_execz .LBB0_40
; %bb.39:
	v_and_b32_e32 v16, 63, v43
	v_and_b32_e32 v24, 63, v42
	s_load_b64 s[0:1], s[0:1], 0x8
	v_mul_lo_u32 v41, v5, v41
	v_or_b32_e32 v43, 64, v43
	v_lshlrev_b32_e32 v22, 3, v16
	v_lshlrev_b32_e32 v25, 3, v24
	v_mul_lo_u32 v60, v5, v38
	v_mul_lo_u32 v65, v5, v16
	;; [unrolled: 1-line block ×3, first 2 shown]
	global_load_b64 v[46:47], v22, s[8:9] offset:448
	v_and_b32_e32 v18, 63, v44
	v_or_b32_e32 v44, 64, v44
	v_or_b32_e32 v42, 64, v42
	v_and_b32_e32 v75, 0xff, v65
	s_delay_alu instid0(VALU_DEP_4) | instskip(NEXT) | instid1(VALU_DEP_4)
	v_lshlrev_b32_e32 v23, 3, v18
	v_mul_lo_u32 v68, v5, v44
	v_and_b32_e32 v73, 0xff, v64
	v_lshrrev_b32_e32 v74, 5, v64
	v_lshrrev_b32_e32 v76, 5, v65
	global_load_b64 v[48:49], v23, s[8:9] offset:448
	v_and_b32_e32 v22, 63, v40
	v_or_b32_e32 v40, 64, v40
	v_lshlrev_b32_e32 v83, 3, v75
	v_and_b32_e32 v77, 0xff, v68
	v_mul_lo_u32 v42, v5, v42
	v_lshlrev_b32_e32 v23, 3, v22
	v_mul_lo_u32 v72, v5, v40
	s_clause 0x1
	global_load_b64 v[50:51], v23, s[8:9] offset:448
	global_load_b64 v[52:53], v25, s[8:9] offset:448
	ds_load_2addr_stride64_b64 v[30:33], v9 offset0:22 offset1:24
	v_and_b32_e32 v25, 63, v39
	v_and_b32_e32 v78, 63, v4
	ds_load_2addr_stride64_b64 v[34:37], v9 offset0:18 offset1:20
	v_and_b32_e32 v81, 0xff, v72
	v_lshrrev_b32_e32 v82, 5, v72
	v_lshlrev_b32_e32 v23, 3, v25
	v_lshlrev_b32_e32 v77, 3, v77
	v_or_b32_e32 v39, 64, v39
	v_or_b32_e32 v4, 64, v4
	global_load_b64 v[54:55], v23, s[8:9] offset:448
	v_lshlrev_b32_e32 v23, 3, v78
	v_mul_lo_u32 v39, v5, v39
	v_mul_lo_u32 v4, v5, v4
	global_load_b64 v[56:57], v23, s[8:9] offset:448
	v_and_b32_e32 v23, 63, v45
	v_or_b32_e32 v45, 64, v45
	v_and_b32_e32 v43, 0xff, v41
	v_lshrrev_b32_e32 v41, 5, v41
	v_and_b32_e32 v62, 0xff, v60
	v_lshlrev_b32_e32 v26, 3, v23
	v_mul_lo_u32 v45, v5, v45
	v_lshlrev_b32_e32 v40, 3, v43
	v_and_b32_e32 v43, 0x7f8, v41
	v_lshrrev_b32_e32 v60, 5, v60
	global_load_b64 v[58:59], v26, s[8:9] offset:448
	ds_load_2addr_stride64_b64 v[26:29], v9 offset0:26 offset1:28
	v_mul_lo_u32 v61, v5, v23
	s_wait_kmcnt 0x0
	s_clause 0x1
	global_load_b64 v[40:41], v40, s[0:1]
	global_load_b64 v[43:44], v43, s[0:1] offset:2048
	v_and_b32_e32 v66, 0xff, v45
	v_lshrrev_b32_e32 v45, 5, v45
	v_lshlrev_b32_e32 v62, 3, v62
	v_and_b32_e32 v63, 0x7f8, v60
	s_delay_alu instid0(VALU_DEP_4) | instskip(NEXT) | instid1(VALU_DEP_4)
	v_lshlrev_b32_e32 v64, 3, v66
	v_and_b32_e32 v45, 0x7f8, v45
	v_and_b32_e32 v70, 0xff, v61
	v_lshrrev_b32_e32 v71, 5, v61
	s_clause 0x3
	global_load_b64 v[60:61], v62, s[0:1]
	global_load_b64 v[62:63], v63, s[0:1] offset:2048
	global_load_b64 v[64:65], v64, s[0:1]
	global_load_b64 v[66:67], v45, s[0:1] offset:2048
	v_lshrrev_b32_e32 v45, 5, v68
	v_lshlrev_b32_e32 v68, 3, v70
	v_lshlrev_b32_e32 v72, 3, v73
	v_and_b32_e32 v70, 0x7f8, v71
	v_and_b32_e32 v74, 0x7f8, v74
	v_and_b32_e32 v84, 0x7f8, v45
	s_wait_loadcnt_dscnt 0xc00
	v_dual_mul_f32 v45, v28, v47 :: v_dual_and_b32 v76, 0x7f8, v76
	v_mul_lo_u32 v69, v5, v18
	v_mul_f32_e32 v85, v29, v47
	s_delay_alu instid0(VALU_DEP_3) | instskip(NEXT) | instid1(VALU_DEP_2)
	v_fma_f32 v87, v29, v46, -v45
	v_fmac_f32_e32 v85, v28, v46
	s_delay_alu instid0(VALU_DEP_4)
	v_and_b32_e32 v79, 0xff, v69
	v_lshrrev_b32_e32 v80, 5, v69
	s_clause 0x1
	global_load_b64 v[68:69], v68, s[0:1]
	global_load_b64 v[70:71], v70, s[0:1] offset:2048
	s_wait_loadcnt 0xd
	v_mul_f32_e32 v47, v26, v49
	v_dual_mul_f32 v86, v27, v49 :: v_dual_lshlrev_b32 v79, 3, v79
	s_clause 0x3
	global_load_b64 v[72:73], v72, s[0:1]
	global_load_b64 v[74:75], v74, s[0:1] offset:2048
	global_load_b64 v[28:29], v83, s[0:1]
	global_load_b64 v[45:46], v76, s[0:1] offset:2048
	v_fma_f32 v83, v27, v48, -v47
	v_fmac_f32_e32 v86, v26, v48
	s_clause 0x1
	global_load_b64 v[26:27], v77, s[0:1]
	global_load_b64 v[47:48], v84, s[0:1] offset:2048
	s_wait_loadcnt 0x12
	v_dual_mul_f32 v49, v32, v51 :: v_dual_and_b32 v80, 0x7f8, v80
	v_dual_mul_f32 v84, v33, v51 :: v_dual_lshlrev_b32 v51, 3, v81
	s_wait_loadcnt 0x11
	v_mul_f32_e32 v76, v53, v30
	v_mul_f32_e32 v81, v53, v31
	v_fma_f32 v88, v33, v50, -v49
	v_fmac_f32_e32 v84, v32, v50
	s_clause 0x1
	global_load_b64 v[32:33], v79, s[0:1]
	global_load_b64 v[49:50], v80, s[0:1] offset:2048
	v_fma_f32 v79, v52, v31, -v76
	v_fmac_f32_e32 v81, v52, v30
	v_and_or_b32 v17, 0x80, v17, v78
	s_wait_loadcnt 0x12
	v_mul_f32_e32 v80, v55, v37
	s_delay_alu instid0(VALU_DEP_1) | instskip(SKIP_3) | instid1(VALU_DEP_1)
	v_fmac_f32_e32 v80, v54, v36
	v_and_or_b32 v0, 0x80, v0, v23
	s_wait_loadcnt 0x0
	v_mul_f32_e32 v90, v32, v50
	v_dual_fmac_f32 v90, v33, v49 :: v_dual_and_b32 v53, 0x7f8, v82
	s_clause 0x1
	global_load_b64 v[30:31], v51, s[0:1]
	global_load_b64 v[51:52], v53, s[0:1] offset:2048
	ds_load_b64 v[76:77], v9 offset:15360
	v_dual_mul_f32 v53, v55, v36 :: v_dual_mul_f32 v36, v57, v34
	v_mul_f32_e32 v57, v57, v35
	v_mul_f32_e32 v55, v41, v44
	s_delay_alu instid0(VALU_DEP_3) | instskip(NEXT) | instid1(VALU_DEP_4)
	v_fma_f32 v82, v54, v37, -v53
	v_fma_f32 v89, v56, v35, -v36
	s_delay_alu instid0(VALU_DEP_4)
	v_fmac_f32_e32 v57, v56, v34
	ds_load_b64 v[34:35], v14
	v_mul_lo_u32 v36, v5, v22
	v_mul_f32_e32 v56, v69, v71
	ds_load_b64 v[14:15], v15
	v_and_b32_e32 v37, 0xff, v36
	v_lshrrev_b32_e32 v36, 5, v36
	s_wait_dscnt 0x2
	v_mul_f32_e32 v53, v76, v59
	v_mul_f32_e32 v59, v77, v59
	v_lshlrev_b32_e32 v37, 3, v37
	v_and_b32_e32 v54, 0x7f8, v36
	s_delay_alu instid0(VALU_DEP_4) | instskip(NEXT) | instid1(VALU_DEP_4)
	v_fma_f32 v77, v77, v58, -v53
	v_fmac_f32_e32 v59, v76, v58
	v_mul_f32_e32 v58, v40, v44
	v_mul_f32_e32 v44, v65, v67
	v_fma_f32 v76, v40, v43, -v55
	v_mul_lo_u32 v40, v5, v24
	s_delay_alu instid0(VALU_DEP_4) | instskip(SKIP_3) | instid1(VALU_DEP_3)
	v_fmac_f32_e32 v58, v41, v43
	v_mul_f32_e32 v41, v61, v63
	v_mul_f32_e32 v63, v60, v63
	v_mul_lo_u32 v43, v5, v25
	v_fma_f32 v60, v60, v62, -v41
	s_delay_alu instid0(VALU_DEP_3)
	v_fmac_f32_e32 v63, v62, v61
	v_mul_f32_e32 v61, v64, v67
	v_fma_f32 v62, v64, v66, -v44
	v_mul_f32_e32 v64, v68, v71
	v_and_b32_e32 v44, 0xff, v39
	v_lshrrev_b32_e32 v39, 5, v39
	v_fmac_f32_e32 v61, v65, v66
	v_fma_f32 v66, v68, v70, -v56
	v_fmac_f32_e32 v64, v69, v70
	v_mul_f32_e32 v70, v72, v75
	v_and_b32_e32 v69, 0x7f8, v39
	v_mul_f32_e32 v39, v73, v75
	v_mul_f32_e32 v75, v26, v48
	s_delay_alu instid0(VALU_DEP_4)
	v_dual_fmac_f32 v70, v73, v74 :: v_dual_and_b32 v65, 0xff, v43
	v_mul_f32_e32 v73, v28, v46
	s_clause 0x1
	global_load_b64 v[36:37], v37, s[0:1]
	global_load_b64 v[53:54], v54, s[0:1] offset:2048
	v_and_b32_e32 v41, 0xff, v42
	v_and_b32_e32 v55, 0xff, v40
	v_lshrrev_b32_e32 v40, 5, v40
	v_lshrrev_b32_e32 v42, 5, v42
	v_fma_f32 v72, v72, v74, -v39
	v_lshlrev_b32_e32 v41, 3, v41
	v_lshrrev_b32_e32 v43, 5, v43
	v_dual_mul_f32 v40, v29, v46 :: v_dual_and_b32 v67, 0x7f8, v40
	v_and_b32_e32 v42, 0x7f8, v42
	v_lshlrev_b32_e32 v55, 3, v55
	s_delay_alu instid0(VALU_DEP_4)
	v_and_b32_e32 v71, 0x7f8, v43
	v_fmac_f32_e32 v73, v29, v45
	v_fma_f32 v74, v28, v45, -v40
	s_clause 0x1
	global_load_b64 v[39:40], v41, s[0:1]
	global_load_b64 v[41:42], v42, s[0:1] offset:2048
	v_dual_fmac_f32 v75, v27, v47 :: v_dual_lshlrev_b32 v68, 3, v44
	s_clause 0x1
	global_load_b64 v[28:29], v55, s[0:1]
	global_load_b64 v[43:44], v67, s[0:1] offset:2048
	v_mul_f32_e32 v46, v27, v48
	v_dual_mul_f32 v55, v33, v50 :: v_dual_and_b32 v56, 0xff, v4
	v_lshrrev_b32_e32 v4, 5, v4
	s_wait_dscnt 0x0
	v_sub_f32_e32 v57, v14, v57
	v_fma_f32 v67, v26, v47, -v46
	s_clause 0x1
	global_load_b64 v[45:46], v68, s[0:1]
	global_load_b64 v[47:48], v69, s[0:1] offset:2048
	v_lshlrev_b32_e32 v65, 3, v65
	v_fma_f32 v68, v32, v49, -v55
	s_clause 0x1
	global_load_b64 v[32:33], v65, s[0:1]
	global_load_b64 v[49:50], v71, s[0:1] offset:2048
	v_and_b32_e32 v4, 0x7f8, v4
	v_fma_f32 v98, v14, 2.0, -v57
	s_wait_loadcnt 0xa
	v_mul_f32_e32 v26, v31, v52
	v_mul_f32_e32 v69, v30, v52
	v_lshlrev_b32_e32 v56, 3, v56
	s_delay_alu instid0(VALU_DEP_3) | instskip(SKIP_1) | instid1(VALU_DEP_3)
	v_fma_f32 v65, v30, v51, -v26
	s_wait_loadcnt 0x8
	v_dual_fmac_f32 v69, v31, v51 :: v_dual_mul_f32 v26, v37, v54
	v_mul_f32_e32 v54, v36, v54
	s_delay_alu instid0(VALU_DEP_2) | instskip(SKIP_1) | instid1(VALU_DEP_2)
	v_fma_f32 v71, v36, v53, -v26
	s_wait_loadcnt 0x6
	v_dual_fmac_f32 v54, v37, v53 :: v_dual_mul_f32 v53, v39, v42
	s_clause 0x1
	global_load_b64 v[30:31], v56, s[0:1]
	global_load_b64 v[51:52], v4, s[0:1] offset:2048
	v_lshlrev_b32_e32 v4, 3, v38
	v_mul_f32_e32 v26, v40, v42
	s_wait_loadcnt 0x6
	v_mul_f32_e32 v92, v28, v44
	global_load_b64 v[55:56], v4, s[8:9] offset:448
	v_mul_lo_u32 v4, v5, v78
	v_fma_f32 v91, v39, v41, -v26
	v_mul_f32_e32 v26, v29, v44
	v_fmac_f32_e32 v92, v29, v43
	s_delay_alu instid0(VALU_DEP_2) | instskip(SKIP_2) | instid1(VALU_DEP_2)
	v_fma_f32 v93, v28, v43, -v26
	v_and_b32_e32 v5, 0xff, v4
	v_lshrrev_b32_e32 v4, 5, v4
	v_lshlrev_b32_e32 v5, 3, v5
	s_delay_alu instid0(VALU_DEP_2)
	v_and_b32_e32 v27, 0x7f8, v4
	s_clause 0x1
	global_load_b64 v[4:5], v5, s[0:1]
	global_load_b64 v[36:37], v27, s[0:1] offset:2048
	ds_load_b64 v[38:39], v2
	ds_load_2addr_stride64_b64 v[26:29], v9 offset1:16
	v_mov_b32_e32 v2, 0
	s_wait_dscnt 0x1
	v_sub_f32_e32 v80, v38, v80
	s_delay_alu instid0(VALU_DEP_1) | instskip(SKIP_2) | instid1(VALU_DEP_1)
	v_fma_f32 v96, v38, 2.0, -v80
	s_wait_loadcnt_dscnt 0x200
	v_mul_f32_e32 v44, v56, v29
	v_dual_fmac_f32 v44, v55, v28 :: v_dual_fmac_f32 v53, v40, v41
	v_mul_f32_e32 v40, v46, v48
	v_mul_f32_e32 v48, v45, v48
	;; [unrolled: 1-line block ×3, first 2 shown]
	s_delay_alu instid0(VALU_DEP_4) | instskip(NEXT) | instid1(VALU_DEP_4)
	v_sub_f32_e32 v44, v26, v44
	v_fma_f32 v9, v45, v47, -v40
	s_delay_alu instid0(VALU_DEP_4) | instskip(SKIP_3) | instid1(VALU_DEP_3)
	v_fmac_f32_e32 v48, v46, v47
	v_dual_mul_f32 v40, v33, v50 :: v_dual_mul_f32 v47, v30, v52
	v_fma_f32 v95, v30, v51, -v41
	v_fma_f32 v26, v26, 2.0, -v44
	v_fma_f32 v94, v32, v49, -v40
	s_delay_alu instid0(VALU_DEP_4)
	v_fmac_f32_e32 v47, v31, v51
	ds_load_b64 v[30:31], v21
	ds_load_b64 v[20:21], v20
	;; [unrolled: 1-line block ×4, first 2 shown]
	v_mul_f32_e32 v45, v32, v50
	v_dual_mov_b32 v7, v2 :: v_dual_mul_f32 v14, v60, v26
	s_wait_dscnt 0x3
	v_sub_f32_e32 v46, v31, v77
	s_delay_alu instid0(VALU_DEP_3)
	v_fmac_f32_e32 v45, v33, v49
	v_sub_f32_e32 v49, v30, v59
	s_wait_dscnt 0x1
	v_dual_mul_f32 v19, v56, v28 :: v_dual_sub_f32 v52, v41, v83
	v_lshlrev_b64_e32 v[32:33], 3, v[1:2]
	v_add_nc_u32_e32 v1, s6, v3
	v_sub_f32_e32 v50, v21, v87
	s_delay_alu instid0(VALU_DEP_4)
	v_fma_f32 v3, v55, v29, -v19
	v_sub_f32_e32 v56, v35, v88
	v_fma_f32 v41, v41, 2.0, -v52
	v_sub_f32_e32 v51, v20, v85
	v_sub_f32_e32 v59, v34, v84
	s_wait_dscnt 0x0
	v_dual_sub_f32 v19, v27, v3 :: v_dual_sub_f32 v78, v42, v81
	v_fma_f32 v21, v21, 2.0, -v50
	v_sub_f32_e32 v55, v40, v86
	v_fma_f32 v85, v35, 2.0, -v56
	s_wait_loadcnt 0x0
	v_dual_mul_f32 v83, v4, v37 :: v_dual_mul_f32 v38, v41, v90
	v_mul_f32_e32 v3, v5, v37
	v_sub_f32_e32 v77, v43, v79
	v_fma_f32 v88, v42, 2.0, -v78
	v_mul_f32_e32 v42, v85, v54
	v_fmac_f32_e32 v83, v5, v36
	v_fma_f32 v99, v4, v36, -v3
	v_mul_f32_e32 v36, v52, v75
	v_fma_f32 v86, v34, 2.0, -v59
	v_mul_f32_e32 v34, v21, v73
	v_fma_f32 v84, v40, 2.0, -v55
	v_dual_mul_f32 v40, v56, v69 :: v_dual_sub_f32 v79, v39, v82
	v_fma_f32 v82, v27, 2.0, -v19
	v_fma_f32 v27, v31, 2.0, -v46
	v_mad_co_u64_u32 v[28:29], null, s4, v17, v[1:2]
	v_mov_b32_e32 v29, v2
	v_sub_f32_e32 v81, v15, v89
	v_fma_f32 v37, v20, 2.0, -v51
	v_mul_f32_e32 v4, v44, v58
	v_mul_f32_e32 v5, v63, v26
	;; [unrolled: 1-line block ×3, first 2 shown]
	v_fma_f32 v31, v30, 2.0, -v49
	v_mul_f32_e32 v30, v50, v70
	v_mul_f32_e32 v3, v19, v58
	v_fma_f32 v87, v43, 2.0, -v77
	v_fma_f32 v97, v15, 2.0, -v81
	v_mul_f32_e32 v20, v49, v61
	v_fma_f32 v4, v19, v76, -v4
	v_mul_f32_e32 v19, v46, v61
	v_dual_mul_f32 v35, v31, v64 :: v_dual_fmac_f32 v34, v37, v74
	v_dual_fmac_f32 v3, v44, v76 :: v_dual_fmac_f32 v36, v55, v67
	v_fma_f32 v15, v82, v60, -v5
	v_dual_mul_f32 v43, v55, v75 :: v_dual_fmac_f32 v38, v84, v68
	v_mul_f32_e32 v44, v77, v53
	v_mul_f32_e32 v5, v37, v73
	v_fma_f32 v89, v39, 2.0, -v79
	v_fma_f32 v20, v46, v62, -v20
	v_fma_f32 v27, v27, v66, -v35
	v_mul_f32_e32 v58, v59, v69
	v_mul_f32_e32 v39, v51, v70
	v_fmac_f32_e32 v26, v31, v66
	v_mul_f32_e32 v60, v86, v54
	v_mul_f32_e32 v54, v97, v83
	v_fma_f32 v35, v21, v74, -v5
	v_dual_mul_f32 v46, v87, v92 :: v_dual_fmac_f32 v19, v49, v62
	v_dual_fmac_f32 v40, v59, v65 :: v_dual_mul_f32 v49, v84, v90
	v_fmac_f32_e32 v42, v86, v71
	v_fma_f32 v37, v52, v67, -v43
	v_dual_mul_f32 v52, v81, v47 :: v_dual_mul_f32 v5, v80, v48
	v_mul_f32_e32 v48, v79, v48
	v_lshlrev_b64_e32 v[6:7], 3, v[6:7]
	v_fma_f32 v31, v50, v72, -v39
	s_delay_alu instid0(VALU_DEP_4) | instskip(NEXT) | instid1(VALU_DEP_4)
	v_fmac_f32_e32 v52, v57, v95
	v_dual_mul_f32 v55, v98, v83 :: v_dual_fmac_f32 v48, v80, v9
	v_fma_f32 v39, v41, v68, -v49
	v_fma_f32 v49, v79, v9, -v5
	v_or_b32_e32 v9, 64, v17
	v_add_co_u32 v32, vcc_lo, s2, v32
	v_lshlrev_b64_e32 v[28:29], 3, v[28:29]
	s_wait_alu 0xfffd
	v_add_co_ci_u32_e32 v33, vcc_lo, s3, v33, vcc_lo
	v_add_co_u32 v5, vcc_lo, s2, v6
	v_mul_f32_e32 v50, v89, v45
	v_mul_f32_e32 v61, v78, v53
	v_dual_mul_f32 v53, v57, v47 :: v_dual_fmac_f32 v46, v88, v93
	v_fma_f32 v41, v56, v65, -v58
	v_mad_co_u64_u32 v[56:57], null, s4, v9, v[1:2]
	s_wait_alu 0xfffd
	v_add_co_ci_u32_e32 v6, vcc_lo, s3, v7, vcc_lo
	v_fmac_f32_e32 v14, v82, v63
	v_add_co_u32 v28, vcc_lo, s2, v28
	v_and_or_b32 v7, 0x80, v13, v25
	v_mov_b32_e32 v57, v2
	v_dual_mul_f32 v21, v96, v45 :: v_dual_fmac_f32 v54, v98, v99
	v_fma_f32 v55, v97, v99, -v55
	s_wait_alu 0xfffd
	v_add_co_ci_u32_e32 v29, vcc_lo, s3, v29, vcc_lo
	s_clause 0x2
	global_store_b64 v[32:33], v[14:15], off
	global_store_b64 v[5:6], v[3:4], off
	;; [unrolled: 1-line block ×3, first 2 shown]
	v_mad_co_u64_u32 v[5:6], null, s4, v7, v[1:2]
	v_or_b32_e32 v9, 64, v7
	v_mov_b32_e32 v6, v2
	v_lshlrev_b64_e32 v[3:4], 3, v[56:57]
	v_and_or_b32 v7, 0x80, v12, v24
	v_fma_f32 v53, v81, v95, -v53
	v_mad_co_u64_u32 v[13:14], null, s4, v9, v[1:2]
	v_mov_b32_e32 v14, v2
	v_add_co_u32 v3, vcc_lo, s2, v3
	s_wait_alu 0xfffd
	v_add_co_ci_u32_e32 v4, vcc_lo, s3, v4, vcc_lo
	v_mad_co_u64_u32 v[24:25], null, s4, v7, v[1:2]
	v_mov_b32_e32 v25, v2
	v_lshlrev_b64_e32 v[5:6], 3, v[5:6]
	global_store_b64 v[3:4], v[52:53], off
	v_lshlrev_b64_e32 v[3:4], 3, v[13:14]
	v_or_b32_e32 v7, 64, v7
	v_fmac_f32_e32 v30, v51, v72
	v_lshlrev_b64_e32 v[12:13], 3, v[24:25]
	v_add_co_u32 v5, vcc_lo, s2, v5
	v_dual_mul_f32 v51, v88, v92 :: v_dual_fmac_f32 v44, v78, v91
	s_wait_alu 0xfffd
	v_add_co_ci_u32_e32 v6, vcc_lo, s3, v6, vcc_lo
	v_add_co_u32 v3, vcc_lo, s2, v3
	v_mad_co_u64_u32 v[14:15], null, s4, v7, v[1:2]
	s_wait_alu 0xfffd
	v_add_co_ci_u32_e32 v4, vcc_lo, s3, v4, vcc_lo
	v_fma_f32 v47, v87, v93, -v51
	v_fma_f32 v51, v89, v94, -v21
	v_fmac_f32_e32 v50, v96, v94
	v_add_co_u32 v12, vcc_lo, s2, v12
	v_and_or_b32 v7, 0x80, v11, v22
	v_mov_b32_e32 v15, v2
	s_wait_alu 0xfffd
	v_add_co_ci_u32_e32 v13, vcc_lo, s3, v13, vcc_lo
	s_clause 0x2
	global_store_b64 v[5:6], v[50:51], off
	global_store_b64 v[3:4], v[48:49], off
	;; [unrolled: 1-line block ×3, first 2 shown]
	v_mad_co_u64_u32 v[5:6], null, s4, v7, v[1:2]
	v_mov_b32_e32 v6, v2
	v_lshlrev_b64_e32 v[3:4], 3, v[14:15]
	v_or_b32_e32 v9, 64, v7
	v_and_or_b32 v7, 0x80, v10, v18
	v_fma_f32 v45, v77, v91, -v61
	v_fma_f32 v43, v85, v71, -v60
	v_lshlrev_b64_e32 v[5:6], 3, v[5:6]
	v_mad_co_u64_u32 v[11:12], null, s4, v9, v[1:2]
	v_add_co_u32 v3, vcc_lo, s2, v3
	s_wait_alu 0xfffd
	v_add_co_ci_u32_e32 v4, vcc_lo, s3, v4, vcc_lo
	v_mov_b32_e32 v12, v2
	v_mad_co_u64_u32 v[9:10], null, s4, v7, v[1:2]
	v_mov_b32_e32 v10, v2
	global_store_b64 v[3:4], v[44:45], off
	v_lshlrev_b64_e32 v[3:4], 3, v[11:12]
	v_or_b32_e32 v7, 64, v7
	v_add_co_u32 v5, vcc_lo, s2, v5
	v_lshlrev_b64_e32 v[9:10], 3, v[9:10]
	s_wait_alu 0xfffd
	v_add_co_ci_u32_e32 v6, vcc_lo, s3, v6, vcc_lo
	v_add_co_u32 v3, vcc_lo, s2, v3
	v_mad_co_u64_u32 v[11:12], null, s4, v7, v[1:2]
	v_and_or_b32 v7, 0x80, v8, v16
	s_wait_alu 0xfffd
	v_add_co_ci_u32_e32 v4, vcc_lo, s3, v4, vcc_lo
	v_add_co_u32 v9, vcc_lo, s2, v9
	s_wait_alu 0xfffd
	v_add_co_ci_u32_e32 v10, vcc_lo, s3, v10, vcc_lo
	v_or_b32_e32 v8, 64, v7
	v_mov_b32_e32 v12, v2
	s_clause 0x2
	global_store_b64 v[5:6], v[42:43], off
	global_store_b64 v[3:4], v[40:41], off
	;; [unrolled: 1-line block ×3, first 2 shown]
	v_mad_co_u64_u32 v[5:6], null, s4, v7, v[1:2]
	v_mov_b32_e32 v6, v2
	v_mad_co_u64_u32 v[7:8], null, s4, v8, v[1:2]
	v_lshlrev_b64_e32 v[3:4], 3, v[11:12]
	v_or_b32_e32 v11, 64, v0
	v_mov_b32_e32 v8, v2
	v_mad_co_u64_u32 v[9:10], null, s4, v0, v[1:2]
	v_lshlrev_b64_e32 v[5:6], 3, v[5:6]
	v_mov_b32_e32 v10, v2
	v_mad_co_u64_u32 v[0:1], null, s4, v11, v[1:2]
	v_mov_b32_e32 v1, v2
	v_add_co_u32 v3, vcc_lo, s2, v3
	v_lshlrev_b64_e32 v[7:8], 3, v[7:8]
	s_wait_alu 0xfffd
	v_add_co_ci_u32_e32 v4, vcc_lo, s3, v4, vcc_lo
	v_add_co_u32 v5, vcc_lo, s2, v5
	v_lshlrev_b64_e32 v[9:10], 3, v[9:10]
	s_wait_alu 0xfffd
	v_add_co_ci_u32_e32 v6, vcc_lo, s3, v6, vcc_lo
	;; [unrolled: 4-line block ×3, first 2 shown]
	v_add_co_u32 v9, vcc_lo, s2, v9
	s_wait_alu 0xfffd
	v_add_co_ci_u32_e32 v10, vcc_lo, s3, v10, vcc_lo
	v_add_co_u32 v0, vcc_lo, s2, v0
	s_wait_alu 0xfffd
	v_add_co_ci_u32_e32 v1, vcc_lo, s3, v1, vcc_lo
	s_clause 0x4
	global_store_b64 v[3:4], v[36:37], off
	global_store_b64 v[5:6], v[34:35], off
	;; [unrolled: 1-line block ×5, first 2 shown]
.LBB0_40:
	s_nop 0
	s_sendmsg sendmsg(MSG_DEALLOC_VGPRS)
	s_endpgm
	.section	.rodata,"a",@progbits
	.p2align	6, 0x0
	.amdhsa_kernel fft_rtc_back_len128_factors_8_4_2_2_wgs_128_tpt_8_dim3_sp_ip_CI_sbcc_twdbase8_2step_dirReg_intrinsicReadWrite
		.amdhsa_group_segment_fixed_size 0
		.amdhsa_private_segment_fixed_size 0
		.amdhsa_kernarg_size 88
		.amdhsa_user_sgpr_count 2
		.amdhsa_user_sgpr_dispatch_ptr 0
		.amdhsa_user_sgpr_queue_ptr 0
		.amdhsa_user_sgpr_kernarg_segment_ptr 1
		.amdhsa_user_sgpr_dispatch_id 0
		.amdhsa_user_sgpr_private_segment_size 0
		.amdhsa_wavefront_size32 1
		.amdhsa_uses_dynamic_stack 0
		.amdhsa_enable_private_segment 0
		.amdhsa_system_sgpr_workgroup_id_x 1
		.amdhsa_system_sgpr_workgroup_id_y 0
		.amdhsa_system_sgpr_workgroup_id_z 0
		.amdhsa_system_sgpr_workgroup_info 0
		.amdhsa_system_vgpr_workitem_id 0
		.amdhsa_next_free_vgpr 100
		.amdhsa_next_free_sgpr 27
		.amdhsa_reserve_vcc 1
		.amdhsa_float_round_mode_32 0
		.amdhsa_float_round_mode_16_64 0
		.amdhsa_float_denorm_mode_32 3
		.amdhsa_float_denorm_mode_16_64 3
		.amdhsa_fp16_overflow 0
		.amdhsa_workgroup_processor_mode 1
		.amdhsa_memory_ordered 1
		.amdhsa_forward_progress 0
		.amdhsa_round_robin_scheduling 0
		.amdhsa_exception_fp_ieee_invalid_op 0
		.amdhsa_exception_fp_denorm_src 0
		.amdhsa_exception_fp_ieee_div_zero 0
		.amdhsa_exception_fp_ieee_overflow 0
		.amdhsa_exception_fp_ieee_underflow 0
		.amdhsa_exception_fp_ieee_inexact 0
		.amdhsa_exception_int_div_zero 0
	.end_amdhsa_kernel
	.text
.Lfunc_end0:
	.size	fft_rtc_back_len128_factors_8_4_2_2_wgs_128_tpt_8_dim3_sp_ip_CI_sbcc_twdbase8_2step_dirReg_intrinsicReadWrite, .Lfunc_end0-fft_rtc_back_len128_factors_8_4_2_2_wgs_128_tpt_8_dim3_sp_ip_CI_sbcc_twdbase8_2step_dirReg_intrinsicReadWrite
                                        ; -- End function
	.section	.AMDGPU.csdata,"",@progbits
; Kernel info:
; codeLenInByte = 8412
; NumSgprs: 29
; NumVgprs: 100
; ScratchSize: 0
; MemoryBound: 0
; FloatMode: 240
; IeeeMode: 1
; LDSByteSize: 0 bytes/workgroup (compile time only)
; SGPRBlocks: 3
; VGPRBlocks: 12
; NumSGPRsForWavesPerEU: 29
; NumVGPRsForWavesPerEU: 100
; Occupancy: 12
; WaveLimiterHint : 1
; COMPUTE_PGM_RSRC2:SCRATCH_EN: 0
; COMPUTE_PGM_RSRC2:USER_SGPR: 2
; COMPUTE_PGM_RSRC2:TRAP_HANDLER: 0
; COMPUTE_PGM_RSRC2:TGID_X_EN: 1
; COMPUTE_PGM_RSRC2:TGID_Y_EN: 0
; COMPUTE_PGM_RSRC2:TGID_Z_EN: 0
; COMPUTE_PGM_RSRC2:TIDIG_COMP_CNT: 0
	.text
	.p2alignl 7, 3214868480
	.fill 96, 4, 3214868480
	.type	__hip_cuid_16cdffc148ab0540,@object ; @__hip_cuid_16cdffc148ab0540
	.section	.bss,"aw",@nobits
	.globl	__hip_cuid_16cdffc148ab0540
__hip_cuid_16cdffc148ab0540:
	.byte	0                               ; 0x0
	.size	__hip_cuid_16cdffc148ab0540, 1

	.ident	"AMD clang version 19.0.0git (https://github.com/RadeonOpenCompute/llvm-project roc-6.4.0 25133 c7fe45cf4b819c5991fe208aaa96edf142730f1d)"
	.section	".note.GNU-stack","",@progbits
	.addrsig
	.addrsig_sym __hip_cuid_16cdffc148ab0540
	.amdgpu_metadata
---
amdhsa.kernels:
  - .args:
      - .actual_access:  read_only
        .address_space:  global
        .offset:         0
        .size:           8
        .value_kind:     global_buffer
      - .address_space:  global
        .offset:         8
        .size:           8
        .value_kind:     global_buffer
      - .actual_access:  read_only
        .address_space:  global
        .offset:         16
        .size:           8
        .value_kind:     global_buffer
      - .actual_access:  read_only
        .address_space:  global
        .offset:         24
        .size:           8
        .value_kind:     global_buffer
      - .offset:         32
        .size:           8
        .value_kind:     by_value
      - .actual_access:  read_only
        .address_space:  global
        .offset:         40
        .size:           8
        .value_kind:     global_buffer
      - .actual_access:  read_only
        .address_space:  global
        .offset:         48
        .size:           8
        .value_kind:     global_buffer
      - .offset:         56
        .size:           4
        .value_kind:     by_value
      - .actual_access:  read_only
        .address_space:  global
        .offset:         64
        .size:           8
        .value_kind:     global_buffer
      - .actual_access:  read_only
        .address_space:  global
        .offset:         72
        .size:           8
        .value_kind:     global_buffer
      - .address_space:  global
        .offset:         80
        .size:           8
        .value_kind:     global_buffer
    .group_segment_fixed_size: 0
    .kernarg_segment_align: 8
    .kernarg_segment_size: 88
    .language:       OpenCL C
    .language_version:
      - 2
      - 0
    .max_flat_workgroup_size: 128
    .name:           fft_rtc_back_len128_factors_8_4_2_2_wgs_128_tpt_8_dim3_sp_ip_CI_sbcc_twdbase8_2step_dirReg_intrinsicReadWrite
    .private_segment_fixed_size: 0
    .sgpr_count:     29
    .sgpr_spill_count: 0
    .symbol:         fft_rtc_back_len128_factors_8_4_2_2_wgs_128_tpt_8_dim3_sp_ip_CI_sbcc_twdbase8_2step_dirReg_intrinsicReadWrite.kd
    .uniform_work_group_size: 1
    .uses_dynamic_stack: false
    .vgpr_count:     100
    .vgpr_spill_count: 0
    .wavefront_size: 32
    .workgroup_processor_mode: 1
amdhsa.target:   amdgcn-amd-amdhsa--gfx1201
amdhsa.version:
  - 1
  - 2
...

	.end_amdgpu_metadata
